;; amdgpu-corpus repo=ROCm/rocFFT kind=compiled arch=gfx1030 opt=O3
	.text
	.amdgcn_target "amdgcn-amd-amdhsa--gfx1030"
	.amdhsa_code_object_version 6
	.protected	bluestein_single_back_len77_dim1_dp_op_CI_CI ; -- Begin function bluestein_single_back_len77_dim1_dp_op_CI_CI
	.globl	bluestein_single_back_len77_dim1_dp_op_CI_CI
	.p2align	8
	.type	bluestein_single_back_len77_dim1_dp_op_CI_CI,@function
bluestein_single_back_len77_dim1_dp_op_CI_CI: ; @bluestein_single_back_len77_dim1_dp_op_CI_CI
; %bb.0:
	s_load_dwordx4 s[8:11], s[4:5], 0x28
	v_mul_u32_u24_e32 v1, 0x1746, v0
	s_mov_b64 s[42:43], s[2:3]
	s_mov_b64 s[40:41], s[0:1]
	s_mov_b32 s0, exec_lo
	s_add_u32 s40, s40, s7
	v_lshrrev_b32_e32 v1, 16, v1
	s_addc_u32 s41, s41, 0
	v_mad_u64_u32 v[112:113], null, s6, 23, v[1:2]
	v_mov_b32_e32 v113, 0
	s_waitcnt lgkmcnt(0)
	v_cmpx_gt_u64_e64 s[8:9], v[112:113]
	s_cbranch_execz .LBB0_10
; %bb.1:
	s_clause 0x1
	s_load_dwordx4 s[0:3], s[4:5], 0x18
	s_load_dwordx4 s[12:15], s[4:5], 0x0
	v_mul_lo_u16 v1, v1, 11
	v_mul_hi_u32 v57, 0xb21642c9, v112
                                        ; implicit-def: $vgpr88_vgpr89
                                        ; implicit-def: $vgpr92_vgpr93
	v_sub_nc_u16 v28, v0, v1
	v_lshrrev_b32_e32 v57, 4, v57
	v_and_b32_e32 v251, 0xffff, v28
	v_mul_lo_u32 v85, v57, 23
	v_lshlrev_b32_e32 v254, 4, v251
	s_waitcnt lgkmcnt(0)
	s_load_dwordx4 s[16:19], s[0:1], 0x0
	v_sub_nc_u32_e32 v85, v112, v85
	s_waitcnt lgkmcnt(0)
	v_mad_u64_u32 v[0:1], null, s18, v112, 0
	v_mad_u64_u32 v[2:3], null, s16, v251, 0
	s_mul_i32 s0, s17, 0xb0
	s_mul_hi_u32 s1, s16, 0xb0
	s_mul_i32 s6, s16, 0xb0
	s_add_i32 s1, s1, s0
	s_mov_b32 s16, 0x5476071b
	s_mov_b32 s18, 0xb247c609
	v_mad_u64_u32 v[4:5], null, s19, v112, v[1:2]
	s_mov_b32 s19, 0x3fd5d0dc
	v_mad_u64_u32 v[5:6], null, s17, v251, v[3:4]
	v_mov_b32_e32 v1, v4
	s_mov_b32 s17, 0x3fe77f67
	v_lshlrev_b64 v[0:1], 4, v[0:1]
	v_mov_b32_e32 v3, v5
	v_add_co_u32 v0, vcc_lo, s10, v0
	v_lshlrev_b64 v[2:3], 4, v[2:3]
	v_add_co_ci_u32_e32 v1, vcc_lo, s11, v1, vcc_lo
	v_add_co_u32 v16, vcc_lo, v0, v2
	v_add_co_ci_u32_e32 v17, vcc_lo, v1, v3, vcc_lo
	s_clause 0x1
	global_load_dwordx4 v[0:3], v254, s[12:13]
	global_load_dwordx4 v[4:7], v254, s[12:13] offset:176
	v_add_co_u32 v18, vcc_lo, v16, s6
	v_add_co_ci_u32_e32 v19, vcc_lo, s1, v17, vcc_lo
	s_clause 0x1
	global_load_dwordx4 v[8:11], v254, s[12:13] offset:352
	global_load_dwordx4 v[12:15], v254, s[12:13] offset:528
	v_add_co_u32 v20, vcc_lo, v18, s6
	v_add_co_ci_u32_e32 v21, vcc_lo, s1, v19, vcc_lo
	global_load_dwordx4 v[29:32], v[16:17], off
	v_add_co_u32 v22, vcc_lo, v20, s6
	v_add_co_ci_u32_e32 v23, vcc_lo, s1, v21, vcc_lo
	s_clause 0x1
	global_load_dwordx4 v[33:36], v[18:19], off
	global_load_dwordx4 v[37:40], v[20:21], off
	v_add_co_u32 v16, vcc_lo, v22, s6
	v_add_co_ci_u32_e32 v17, vcc_lo, s1, v23, vcc_lo
	s_clause 0x1
	global_load_dwordx4 v[41:44], v[22:23], off
	global_load_dwordx4 v[45:48], v[16:17], off
	v_add_co_u32 v20, vcc_lo, v16, s6
	v_add_co_ci_u32_e32 v21, vcc_lo, s1, v17, vcc_lo
	v_add_co_u32 v53, vcc_lo, v20, s6
	v_add_co_ci_u32_e32 v54, vcc_lo, s1, v21, vcc_lo
	s_clause 0x1
	global_load_dwordx4 v[24:27], v254, s[12:13] offset:704
	global_load_dwordx4 v[16:19], v254, s[12:13] offset:880
	global_load_dwordx4 v[49:52], v[20:21], off
	global_load_dwordx4 v[20:23], v254, s[12:13] offset:1056
	global_load_dwordx4 v[53:56], v[53:54], off
	s_load_dwordx4 s[8:11], s[2:3], 0x0
	s_mov_b32 s0, 0x37e14327
	s_mov_b32 s1, 0x3fe948f6
	s_mov_b32 s2, 0x36b3c0b5
	s_mov_b32 s6, 0xe976ee23
	s_mov_b32 s3, 0x3fac98ee
	s_mov_b32 s7, 0xbfe11646
	v_cmp_gt_u16_e32 vcc_lo, 7, v28
	s_waitcnt vmcnt(9)
	v_mul_f64 v[57:58], v[31:32], v[2:3]
	v_mul_f64 v[59:60], v[29:30], v[2:3]
	s_waitcnt vmcnt(8)
	v_mul_f64 v[61:62], v[35:36], v[6:7]
	v_mul_f64 v[63:64], v[33:34], v[6:7]
	;; [unrolled: 3-line block ×7, first 2 shown]
	v_fma_f64 v[29:30], v[29:30], v[0:1], v[57:58]
	v_fma_f64 v[31:32], v[31:32], v[0:1], -v[59:60]
	v_fma_f64 v[33:34], v[33:34], v[4:5], v[61:62]
	v_fma_f64 v[35:36], v[35:36], v[4:5], -v[63:64]
	;; [unrolled: 2-line block ×3, first 2 shown]
	v_mul_u32_u24_e32 v57, 0x4d, v85
	v_fma_f64 v[41:42], v[41:42], v[12:13], v[69:70]
	v_fma_f64 v[43:44], v[43:44], v[12:13], -v[71:72]
	v_lshlrev_b32_e32 v253, 4, v57
	v_fma_f64 v[45:46], v[45:46], v[24:25], v[73:74]
	v_fma_f64 v[47:48], v[47:48], v[24:25], -v[75:76]
	v_fma_f64 v[49:50], v[49:50], v[16:17], v[77:78]
	v_fma_f64 v[51:52], v[51:52], v[16:17], -v[79:80]
	;; [unrolled: 2-line block ×3, first 2 shown]
	v_add_nc_u32_e32 v252, v254, v253
                                        ; implicit-def: $vgpr80_vgpr81
	ds_write_b128 v252, v[29:32]
	ds_write_b128 v252, v[33:36] offset:176
	ds_write_b128 v252, v[37:40] offset:352
	;; [unrolled: 1-line block ×6, first 2 shown]
	s_waitcnt lgkmcnt(0)
	s_barrier
	buffer_gl0_inv
	ds_read_b128 v[29:32], v252 offset:176
	ds_read_b128 v[33:36], v252 offset:1056
	ds_read_b128 v[37:40], v252 offset:880
	ds_read_b128 v[41:44], v252 offset:352
	ds_read_b128 v[45:48], v252 offset:704
	ds_read_b128 v[49:52], v252 offset:528
	s_waitcnt lgkmcnt(4)
	v_add_f64 v[53:54], v[29:30], v[33:34]
	v_add_f64 v[55:56], v[31:32], v[35:36]
	s_waitcnt lgkmcnt(2)
	v_add_f64 v[57:58], v[41:42], v[37:38]
	v_add_f64 v[59:60], v[43:44], v[39:40]
	;; [unrolled: 3-line block ×3, first 2 shown]
	v_add_f64 v[37:38], v[41:42], -v[37:38]
	v_add_f64 v[39:40], v[43:44], -v[39:40]
	;; [unrolled: 1-line block ×6, first 2 shown]
	ds_read_b128 v[29:32], v252
	s_waitcnt lgkmcnt(0)
	s_barrier
	buffer_gl0_inv
	v_add_f64 v[45:46], v[57:58], v[53:54]
	v_add_f64 v[47:48], v[59:60], v[55:56]
	v_add_f64 v[49:50], v[53:54], -v[61:62]
	v_add_f64 v[51:52], v[55:56], -v[63:64]
	v_add_f64 v[65:66], v[61:62], -v[57:58]
	v_add_f64 v[67:68], v[63:64], -v[59:60]
	v_add_f64 v[69:70], v[41:42], -v[37:38]
	v_add_f64 v[71:72], v[43:44], -v[39:40]
	v_add_f64 v[73:74], v[37:38], -v[33:34]
	v_add_f64 v[75:76], v[39:40], -v[35:36]
	v_add_f64 v[53:54], v[57:58], -v[53:54]
	v_add_f64 v[55:56], v[59:60], -v[55:56]
	v_add_f64 v[37:38], v[41:42], v[37:38]
	v_add_f64 v[39:40], v[43:44], v[39:40]
	v_add_f64 v[41:42], v[33:34], -v[41:42]
	v_add_f64 v[43:44], v[35:36], -v[43:44]
	v_add_f64 v[45:46], v[61:62], v[45:46]
	v_add_f64 v[47:48], v[63:64], v[47:48]
	v_mul_f64 v[49:50], v[49:50], s[0:1]
	v_mul_f64 v[51:52], v[51:52], s[0:1]
	s_mov_b32 s0, 0x429ad128
	v_mul_f64 v[57:58], v[65:66], s[2:3]
	v_mul_f64 v[59:60], v[67:68], s[2:3]
	;; [unrolled: 1-line block ×4, first 2 shown]
	s_mov_b32 s1, 0x3febfeb5
	s_mov_b32 s6, 0xaaaaaaaa
	v_mul_f64 v[69:70], v[73:74], s[0:1]
	v_mul_f64 v[71:72], v[75:76], s[0:1]
	s_mov_b32 s7, 0xbff2aaaa
	v_add_f64 v[84:85], v[29:30], v[45:46]
	v_add_f64 v[86:87], v[31:32], v[47:48]
	;; [unrolled: 1-line block ×4, first 2 shown]
	v_fma_f64 v[33:34], v[65:66], s[2:3], v[49:50]
	v_fma_f64 v[37:38], v[53:54], s[16:17], -v[57:58]
	v_fma_f64 v[39:40], v[55:56], s[16:17], -v[59:60]
	s_mov_b32 s17, 0xbfe77f67
	v_fma_f64 v[57:58], v[41:42], s[18:19], v[61:62]
	v_fma_f64 v[59:60], v[43:44], s[18:19], v[63:64]
	s_mov_b32 s19, 0xbfd5d0dc
	v_fma_f64 v[35:36], v[67:68], s[2:3], v[51:52]
	v_fma_f64 v[61:62], v[73:74], s[0:1], -v[61:62]
	v_fma_f64 v[63:64], v[75:76], s[0:1], -v[63:64]
	;; [unrolled: 1-line block ×6, first 2 shown]
	s_mov_b32 s0, 0x37c3f68c
	s_mov_b32 s1, 0x3fdc38aa
	s_load_dwordx2 s[2:3], s[4:5], 0x38
                                        ; implicit-def: $vgpr76_vgpr77
	v_fma_f64 v[45:46], v[45:46], s[6:7], v[84:85]
	v_fma_f64 v[47:48], v[47:48], s[6:7], v[86:87]
	;; [unrolled: 1-line block ×8, first 2 shown]
	v_add_co_u32 v96, s0, s12, v254
	v_add_co_ci_u32_e64 v97, null, s13, 0, s0
	v_add_f64 v[33:34], v[33:34], v[45:46]
	v_add_f64 v[35:36], v[35:36], v[47:48]
	;; [unrolled: 1-line block ×6, first 2 shown]
	v_mul_lo_u16 v45, v28, 7
	v_add_f64 v[52:53], v[33:34], v[68:69]
	v_add_f64 v[54:55], v[35:36], -v[70:71]
	v_add_f64 v[56:57], v[41:42], v[31:32]
	v_add_f64 v[58:59], v[43:44], -v[29:30]
	v_add_f64 v[60:61], v[37:38], -v[72:73]
	v_add_f64 v[62:63], v[65:66], v[39:40]
	v_add_f64 v[72:73], v[37:38], v[72:73]
	v_add_f64 v[74:75], v[39:40], -v[65:66]
	v_add_f64 v[64:65], v[41:42], -v[31:32]
	v_add_f64 v[66:67], v[29:30], v[43:44]
	v_add_f64 v[68:69], v[33:34], -v[68:69]
	v_add_f64 v[70:71], v[70:71], v[35:36]
	v_and_b32_e32 v29, 0xffff, v45
	v_lshl_add_u32 v255, v29, 4, v253
	ds_write_b128 v255, v[84:87]
	ds_write_b128 v255, v[52:55] offset:16
	ds_write_b128 v255, v[56:59] offset:32
	;; [unrolled: 1-line block ×6, first 2 shown]
	s_waitcnt lgkmcnt(0)
	s_barrier
	buffer_gl0_inv
	s_and_saveexec_b32 s0, vcc_lo
	s_cbranch_execz .LBB0_3
; %bb.2:
	ds_read_b128 v[84:87], v252
	ds_read_b128 v[52:55], v252 offset:112
	ds_read_b128 v[56:59], v252 offset:224
	;; [unrolled: 1-line block ×10, first 2 shown]
.LBB0_3:
	s_or_b32 exec_lo, exec_lo, s0
	v_add_nc_u32_e32 v28, -7, v251
	s_mov_b32 s18, 0xf8bb580b
	s_mov_b32 s19, 0xbfe14ced
	;; [unrolled: 1-line block ×4, first 2 shown]
	v_cndmask_b32_e32 v28, v28, v251, vcc_lo
	s_mov_b32 s4, 0xd9c712b6
	s_mov_b32 s5, 0x3fda9628
	;; [unrolled: 1-line block ×4, first 2 shown]
	v_mul_hi_i32_i24_e32 v29, 10, v28
	v_mul_i32_i24_e32 v28, 10, v28
	s_mov_b32 s22, 0xbb3a28a1
	s_mov_b32 s23, 0xbfe82f19
	;; [unrolled: 1-line block ×4, first 2 shown]
	v_lshlrev_b64 v[28:29], 4, v[28:29]
	s_mov_b32 s36, 0xfd768dbf
	s_mov_b32 s37, 0x3fd207e7
	;; [unrolled: 1-line block ×5, first 2 shown]
	v_add_co_u32 v98, s0, s14, v28
	v_add_co_ci_u32_e64 v99, s0, s15, v29, s0
	s_mov_b32 s0, 0x8764f0ba
	s_mov_b32 s1, 0x3feaeb8c
	s_clause 0x5
	global_load_dwordx4 v[28:31], v[98:99], off
	global_load_dwordx4 v[44:47], v[98:99], off offset:144
	global_load_dwordx4 v[36:39], v[98:99], off offset:16
	;; [unrolled: 1-line block ×5, first 2 shown]
	s_mov_b32 s14, 0x43842ef
	s_mov_b32 s15, 0xbfefac9e
	;; [unrolled: 1-line block ×9, first 2 shown]
	s_waitcnt vmcnt(5) lgkmcnt(9)
	v_mul_f64 v[100:101], v[52:53], v[30:31]
	v_mul_f64 v[102:103], v[54:55], v[30:31]
	v_fma_f64 v[161:162], v[54:55], v[28:29], v[100:101]
	v_fma_f64 v[159:160], v[52:53], v[28:29], -v[102:103]
	s_waitcnt vmcnt(4) lgkmcnt(0)
	v_mul_f64 v[52:53], v[92:93], v[46:47]
	v_mul_f64 v[54:55], v[94:95], v[46:47]
	v_fma_f64 v[127:128], v[94:95], v[44:45], v[52:53]
	v_fma_f64 v[94:95], v[92:93], v[44:45], -v[54:55]
	s_waitcnt vmcnt(3)
	v_mul_f64 v[52:53], v[58:59], v[38:39]
	v_mul_f64 v[54:55], v[56:57], v[38:39]
	v_add_f64 v[221:222], v[161:162], -v[127:128]
	v_add_f64 v[219:220], v[159:160], v[94:95]
	v_fma_f64 v[115:116], v[56:57], v[36:37], -v[52:53]
	v_fma_f64 v[117:118], v[58:59], v[36:37], v[54:55]
	s_waitcnt vmcnt(2)
	v_mul_f64 v[52:53], v[88:89], v[42:43]
	v_mul_f64 v[54:55], v[90:91], v[42:43]
	v_add_f64 v[237:238], v[159:160], -v[94:95]
	v_mul_f64 v[223:224], v[221:222], s[18:19]
	v_mul_f64 v[239:240], v[221:222], s[20:21]
	;; [unrolled: 1-line block ×4, first 2 shown]
	v_fma_f64 v[90:91], v[90:91], v[40:41], v[52:53]
	v_fma_f64 v[88:89], v[88:89], v[40:41], -v[54:55]
	s_waitcnt vmcnt(1)
	v_mul_f64 v[52:53], v[60:61], v[34:35]
	v_mul_f64 v[54:55], v[62:63], v[34:35]
	;; [unrolled: 1-line block ×6, first 2 shown]
	v_add_f64 v[139:140], v[117:118], -v[90:91]
	v_add_f64 v[137:138], v[115:116], v[88:89]
	v_fma_f64 v[104:105], v[62:63], v[32:33], v[52:53]
	v_fma_f64 v[102:103], v[60:61], v[32:33], -v[54:55]
	s_waitcnt vmcnt(0)
	v_mul_f64 v[52:53], v[74:75], v[50:51]
	v_mul_f64 v[54:55], v[72:73], v[50:51]
	v_add_f64 v[151:152], v[115:116], -v[88:89]
	v_add_f64 v[147:148], v[117:118], v[90:91]
	v_mul_f64 v[163:164], v[139:140], s[20:21]
	v_mul_f64 v[187:188], v[139:140], s[22:23]
	;; [unrolled: 1-line block ×4, first 2 shown]
	v_fma_f64 v[106:107], v[72:73], v[48:49], -v[52:53]
	v_fma_f64 v[108:109], v[74:75], v[48:49], v[54:55]
	s_clause 0x1
	global_load_dwordx4 v[52:55], v[98:99], off offset:64
	global_load_dwordx4 v[60:63], v[98:99], off offset:80
	v_mul_f64 v[167:168], v[151:152], s[20:21]
	v_mul_f64 v[193:194], v[151:152], s[22:23]
	v_mul_f64 v[215:216], v[151:152], s[36:37]
	v_mul_f64 v[235:236], v[151:152], s[30:31]
	v_fma_f64 v[195:196], v[147:148], s[6:7], -v[235:236]
	s_waitcnt vmcnt(1)
	v_mul_f64 v[56:57], v[66:67], v[54:55]
	v_fma_f64 v[110:111], v[64:65], v[52:53], -v[56:57]
	v_mul_f64 v[56:57], v[64:65], v[54:55]
	v_fma_f64 v[113:114], v[66:67], v[52:53], v[56:57]
	s_clause 0x1
	global_load_dwordx4 v[56:59], v[98:99], off offset:112
	global_load_dwordx4 v[64:67], v[98:99], off offset:96
	buffer_store_dword v127, off, s[40:43], 0 ; 4-byte Folded Spill
	buffer_store_dword v128, off, s[40:43], 0 offset:4 ; 4-byte Folded Spill
	s_waitcnt vmcnt(1)
	v_mul_f64 v[72:73], v[80:81], v[58:59]
	v_add_f64 v[231:232], v[161:162], v[127:128]
	v_fma_f64 v[98:99], v[82:83], v[56:57], v[72:73]
	v_mul_f64 v[72:73], v[82:83], v[58:59]
	v_add_f64 v[141:142], v[104:105], -v[98:99]
	v_fma_f64 v[100:101], v[80:81], v[56:57], -v[72:73]
	v_mul_f64 v[72:73], v[70:71], v[62:63]
	v_add_f64 v[145:146], v[104:105], v[98:99]
	v_mul_f64 v[171:172], v[141:142], s[14:15]
	v_add_f64 v[135:136], v[102:103], v[100:101]
	v_fma_f64 v[123:124], v[68:69], v[60:61], -v[72:73]
	v_mul_f64 v[68:69], v[68:69], v[62:63]
	v_fma_f64 v[72:73], v[147:148], s[4:5], -v[167:168]
	v_add_f64 v[157:158], v[102:103], -v[100:101]
	v_mul_f64 v[181:182], v[141:142], s[36:37]
	v_mul_f64 v[205:206], v[141:142], s[26:27]
	;; [unrolled: 1-line block ×3, first 2 shown]
	v_add_f64 v[127:128], v[110:111], v[123:124]
	v_fma_f64 v[125:126], v[70:71], v[60:61], v[68:69]
	s_waitcnt vmcnt(0)
	v_mul_f64 v[68:69], v[78:79], v[66:67]
	v_fma_f64 v[70:71], v[137:138], s[4:5], v[163:164]
	v_mul_f64 v[173:174], v[157:158], s[14:15]
	v_add_f64 v[199:200], v[110:111], -v[123:124]
	v_mul_f64 v[183:184], v[157:158], s[36:37]
	v_mul_f64 v[209:210], v[157:158], s[26:27]
	;; [unrolled: 1-line block ×3, first 2 shown]
	v_add_f64 v[131:132], v[113:114], -v[125:126]
	v_fma_f64 v[119:120], v[76:77], v[64:65], -v[68:69]
	v_mul_f64 v[68:69], v[76:77], v[66:67]
	v_add_f64 v[143:144], v[113:114], v[125:126]
	v_mul_f64 v[207:208], v[199:200], s[34:35]
	v_fma_f64 v[76:77], v[147:148], s[16:17], -v[193:194]
	v_mul_f64 v[155:156], v[199:200], s[28:29]
	v_mul_f64 v[179:180], v[199:200], s[22:23]
	;; [unrolled: 1-line block ×3, first 2 shown]
	v_add_f64 v[129:130], v[106:107], v[119:120]
	v_fma_f64 v[121:122], v[78:79], v[64:65], v[68:69]
	v_fma_f64 v[68:69], v[219:220], s[0:1], v[223:224]
	v_add_f64 v[177:178], v[106:107], -v[119:120]
	v_mul_f64 v[153:154], v[131:132], s[28:29]
	v_mul_f64 v[169:170], v[131:132], s[22:23]
	v_fma_f64 v[78:79], v[137:138], s[6:7], v[229:230]
	v_add_f64 v[133:134], v[108:109], -v[121:122]
	v_add_f64 v[68:69], v[84:85], v[68:69]
	v_add_f64 v[149:150], v[108:109], v[121:122]
	v_mul_f64 v[189:190], v[177:178], s[22:23]
	v_mul_f64 v[175:176], v[177:178], s[30:31]
	;; [unrolled: 1-line block ×5, first 2 shown]
	v_add_f64 v[68:69], v[70:71], v[68:69]
	v_fma_f64 v[70:71], v[231:232], s[0:1], -v[233:234]
	v_mul_f64 v[165:166], v[133:134], s[30:31]
	v_mul_f64 v[191:192], v[133:134], s[18:19]
	;; [unrolled: 1-line block ×3, first 2 shown]
	v_add_f64 v[70:71], v[86:87], v[70:71]
	v_add_f64 v[70:71], v[72:73], v[70:71]
	v_fma_f64 v[72:73], v[135:136], s[6:7], v[171:172]
	v_add_f64 v[68:69], v[72:73], v[68:69]
	v_fma_f64 v[72:73], v[145:146], s[6:7], -v[173:174]
	v_add_f64 v[70:71], v[72:73], v[70:71]
	v_fma_f64 v[72:73], v[129:130], s[16:17], v[185:186]
	v_add_f64 v[68:69], v[72:73], v[68:69]
	v_fma_f64 v[72:73], v[149:150], s[16:17], -v[189:190]
	;; [unrolled: 4-line block ×3, first 2 shown]
	v_add_f64 v[74:75], v[68:69], v[70:71]
	v_fma_f64 v[68:69], v[219:220], s[4:5], v[239:240]
	v_fma_f64 v[70:71], v[137:138], s[16:17], v[187:188]
	v_add_f64 v[68:69], v[84:85], v[68:69]
	v_add_f64 v[68:69], v[70:71], v[68:69]
	v_fma_f64 v[70:71], v[231:232], s[4:5], -v[241:242]
	v_add_f64 v[70:71], v[86:87], v[70:71]
	v_add_f64 v[70:71], v[76:77], v[70:71]
	v_fma_f64 v[76:77], v[135:136], s[24:25], v[181:182]
	v_add_f64 v[68:69], v[76:77], v[68:69]
	v_fma_f64 v[76:77], v[145:146], s[24:25], -v[183:184]
	v_add_f64 v[70:71], v[76:77], v[70:71]
	v_fma_f64 v[76:77], v[129:130], s[6:7], v[165:166]
	v_add_f64 v[68:69], v[76:77], v[68:69]
	v_fma_f64 v[76:77], v[149:150], s[6:7], -v[175:176]
	;; [unrolled: 4-line block ×3, first 2 shown]
	v_fma_f64 v[76:77], v[147:148], s[24:25], -v[215:216]
	v_add_f64 v[82:83], v[68:69], v[70:71]
	v_fma_f64 v[68:69], v[219:220], s[6:7], v[243:244]
	v_fma_f64 v[70:71], v[137:138], s[24:25], v[211:212]
	v_add_f64 v[68:69], v[84:85], v[68:69]
	v_add_f64 v[68:69], v[70:71], v[68:69]
	v_fma_f64 v[70:71], v[231:232], s[6:7], -v[245:246]
	v_add_f64 v[70:71], v[86:87], v[70:71]
	v_add_f64 v[70:71], v[76:77], v[70:71]
	v_fma_f64 v[76:77], v[135:136], s[4:5], v[205:206]
	v_add_f64 v[68:69], v[76:77], v[68:69]
	v_fma_f64 v[76:77], v[145:146], s[4:5], -v[209:210]
	v_add_f64 v[70:71], v[76:77], v[70:71]
	v_fma_f64 v[76:77], v[129:130], s[0:1], v[191:192]
	v_add_f64 v[68:69], v[76:77], v[68:69]
	v_fma_f64 v[76:77], v[149:150], s[0:1], -v[197:198]
	;; [unrolled: 4-line block ×3, first 2 shown]
	v_add_f64 v[70:71], v[76:77], v[70:71]
	v_fma_f64 v[76:77], v[219:220], s[16:17], v[247:248]
	v_add_f64 v[76:77], v[84:85], v[76:77]
	v_add_f64 v[76:77], v[78:79], v[76:77]
	v_fma_f64 v[78:79], v[231:232], s[16:17], -v[249:250]
	v_add_f64 v[78:79], v[86:87], v[78:79]
	v_add_f64 v[78:79], v[195:196], v[78:79]
	v_fma_f64 v[195:196], v[135:136], s[0:1], v[225:226]
	v_add_f64 v[76:77], v[195:196], v[76:77]
	v_fma_f64 v[195:196], v[145:146], s[0:1], -v[227:228]
	v_add_f64 v[78:79], v[195:196], v[78:79]
	v_fma_f64 v[195:196], v[129:130], s[24:25], v[213:214]
	v_add_f64 v[76:77], v[195:196], v[76:77]
	v_fma_f64 v[195:196], v[149:150], s[24:25], -v[217:218]
	v_add_f64 v[78:79], v[195:196], v[78:79]
	v_mul_f64 v[195:196], v[131:132], s[26:27]
	v_fma_f64 v[201:202], v[127:128], s[4:5], v[195:196]
	v_add_f64 v[76:77], v[201:202], v[76:77]
	v_mul_f64 v[201:202], v[199:200], s[26:27]
	v_fma_f64 v[92:93], v[143:144], s[4:5], -v[201:202]
	v_add_f64 v[78:79], v[92:93], v[78:79]
	s_and_saveexec_b32 s33, vcc_lo
	s_cbranch_execz .LBB0_5
; %bb.4:
	v_mul_f64 v[92:93], v[231:232], s[24:25]
	buffer_store_dword v94, off, s[40:43], 0 offset:8 ; 4-byte Folded Spill
	buffer_store_dword v95, off, s[40:43], 0 offset:12 ; 4-byte Folded Spill
	v_mul_f64 v[221:222], v[221:222], s[34:35]
	v_add_f64 v[161:162], v[86:87], v[161:162]
	v_add_f64 v[159:160], v[84:85], v[159:160]
	v_mul_f64 v[139:140], v[139:140], s[28:29]
	v_fma_f64 v[94:95], v[237:238], s[36:37], v[92:93]
	v_fma_f64 v[92:93], v[237:238], s[34:35], v[92:93]
	v_mul_f64 v[237:238], v[231:232], s[16:17]
	v_add_f64 v[117:118], v[161:162], v[117:118]
	v_add_f64 v[115:116], v[159:160], v[115:116]
	v_mul_f64 v[159:160], v[143:144], s[6:7]
	v_add_f64 v[94:95], v[86:87], v[94:95]
	v_add_f64 v[92:93], v[86:87], v[92:93]
	;; [unrolled: 1-line block ×3, first 2 shown]
	v_mul_f64 v[249:250], v[231:232], s[6:7]
	v_add_f64 v[102:103], v[115:116], v[102:103]
	v_fma_f64 v[161:162], v[199:200], s[30:31], v[159:160]
	v_fma_f64 v[159:160], v[199:200], s[14:15], v[159:160]
	v_mul_f64 v[199:200], v[149:150], s[4:5]
	v_add_f64 v[104:105], v[117:118], v[104:105]
	v_mul_f64 v[115:116], v[145:146], s[4:5]
	v_mul_f64 v[117:118], v[135:136], s[24:25]
	v_add_f64 v[237:238], v[86:87], v[237:238]
	v_add_f64 v[245:246], v[245:246], v[249:250]
	v_mul_f64 v[249:250], v[231:232], s[4:5]
	v_mul_f64 v[231:232], v[231:232], s[0:1]
	v_add_f64 v[102:103], v[102:103], v[106:107]
	v_mul_f64 v[106:107], v[135:136], s[4:5]
	v_add_f64 v[104:105], v[104:105], v[108:109]
	v_mul_f64 v[108:109], v[145:146], s[24:25]
	v_add_f64 v[117:118], v[117:118], -v[181:182]
	v_add_f64 v[115:116], v[209:210], v[115:116]
	v_add_f64 v[245:246], v[86:87], v[245:246]
	;; [unrolled: 1-line block ×4, first 2 shown]
	v_mul_f64 v[233:234], v[219:220], s[0:1]
	v_add_f64 v[102:103], v[102:103], v[110:111]
	v_add_f64 v[104:105], v[104:105], v[113:114]
	v_add_f64 v[106:107], v[106:107], -v[205:206]
	v_mul_f64 v[110:111], v[141:142], s[22:23]
	v_mul_f64 v[141:142], v[129:130], s[24:25]
	v_add_f64 v[108:109], v[183:184], v[108:109]
	v_add_f64 v[241:242], v[86:87], v[241:242]
	;; [unrolled: 1-line block ×3, first 2 shown]
	v_add_f64 v[223:224], v[233:234], -v[223:224]
	v_mul_f64 v[233:234], v[219:220], s[4:5]
	v_add_f64 v[102:103], v[102:103], v[123:124]
	v_add_f64 v[104:105], v[104:105], v[125:126]
	v_mul_f64 v[125:126], v[129:130], s[0:1]
	v_add_f64 v[141:142], v[141:142], -v[213:214]
	v_fma_f64 v[113:114], v[135:136], s[16:17], v[110:111]
	v_fma_f64 v[110:111], v[135:136], s[16:17], -v[110:111]
	v_mul_f64 v[123:124], v[149:150], s[0:1]
	v_add_f64 v[223:224], v[84:85], v[223:224]
	v_add_f64 v[233:234], v[233:234], -v[239:240]
	v_mul_f64 v[239:240], v[219:220], s[6:7]
	v_add_f64 v[102:103], v[102:103], v[119:120]
	v_add_f64 v[125:126], v[125:126], -v[191:192]
	v_add_f64 v[104:105], v[104:105], v[121:122]
	v_mul_f64 v[119:120], v[133:134], s[26:27]
	v_mul_f64 v[133:134], v[143:144], s[4:5]
	v_add_f64 v[123:124], v[197:198], v[123:124]
	v_add_f64 v[231:232], v[84:85], v[233:234]
	v_add_f64 v[239:240], v[239:240], -v[243:244]
	v_mul_f64 v[243:244], v[219:220], s[16:17]
	v_add_f64 v[100:101], v[102:103], v[100:101]
	v_add_f64 v[98:99], v[104:105], v[98:99]
	v_fma_f64 v[121:122], v[129:130], s[4:5], v[119:120]
	v_fma_f64 v[119:120], v[129:130], s[4:5], -v[119:120]
	v_mul_f64 v[104:105], v[143:144], s[0:1]
	v_mul_f64 v[102:103], v[127:128], s[16:17]
	v_add_f64 v[133:134], v[201:202], v[133:134]
	v_add_f64 v[233:234], v[84:85], v[239:240]
	v_add_f64 v[243:244], v[243:244], -v[247:248]
	v_fma_f64 v[247:248], v[219:220], s[24:25], v[221:222]
	v_fma_f64 v[219:220], v[219:220], s[24:25], -v[221:222]
	v_add_f64 v[102:103], v[102:103], -v[169:170]
	v_add_f64 v[239:240], v[84:85], v[243:244]
	v_add_f64 v[221:222], v[84:85], v[247:248]
	;; [unrolled: 1-line block ×3, first 2 shown]
	v_mul_f64 v[219:220], v[147:148], s[4:5]
	v_add_f64 v[167:168], v[167:168], v[219:220]
	v_mul_f64 v[219:220], v[137:138], s[4:5]
	v_add_f64 v[86:87], v[167:168], v[86:87]
	v_add_f64 v[163:164], v[219:220], -v[163:164]
	v_mul_f64 v[219:220], v[145:146], s[6:7]
	v_add_f64 v[163:164], v[163:164], v[223:224]
	v_add_f64 v[173:174], v[173:174], v[219:220]
	v_mul_f64 v[219:220], v[135:136], s[6:7]
	v_add_f64 v[86:87], v[173:174], v[86:87]
	v_add_f64 v[171:172], v[219:220], -v[171:172]
	v_mul_f64 v[219:220], v[149:150], s[16:17]
	v_add_f64 v[189:190], v[189:190], v[219:220]
	v_mul_f64 v[219:220], v[129:130], s[16:17]
	v_mul_f64 v[129:130], v[129:130], s[6:7]
	v_add_f64 v[185:186], v[219:220], -v[185:186]
	v_mul_f64 v[219:220], v[143:144], s[24:25]
	v_add_f64 v[129:130], v[129:130], -v[165:166]
	v_mul_f64 v[165:166], v[143:144], s[16:17]
	v_add_f64 v[207:208], v[207:208], v[219:220]
	v_mul_f64 v[219:220], v[127:128], s[24:25]
	v_add_f64 v[165:166], v[179:180], v[165:166]
	v_add_f64 v[203:204], v[219:220], -v[203:204]
	v_fma_f64 v[219:220], v[177:178], s[20:21], v[199:200]
	v_fma_f64 v[177:178], v[177:178], s[26:27], v[199:200]
	v_mul_f64 v[199:200], v[145:146], s[16:17]
	s_mov_b32 s21, 0x3fe82f19
	s_mov_b32 s20, s22
	v_fma_f64 v[243:244], v[157:158], s[20:21], v[199:200]
	v_fma_f64 v[157:158], v[157:158], s[22:23], v[199:200]
	v_mul_f64 v[199:200], v[147:148], s[0:1]
	v_fma_f64 v[247:248], v[151:152], s[18:19], v[199:200]
	v_fma_f64 v[151:152], v[151:152], s[28:29], v[199:200]
	v_mul_f64 v[199:200], v[147:148], s[6:7]
	v_add_f64 v[94:95], v[247:248], v[94:95]
	v_add_f64 v[92:93], v[151:152], v[92:93]
	;; [unrolled: 1-line block ×3, first 2 shown]
	v_mul_f64 v[235:236], v[137:138], s[6:7]
	v_add_f64 v[94:95], v[243:244], v[94:95]
	v_add_f64 v[92:93], v[157:158], v[92:93]
	;; [unrolled: 1-line block ×3, first 2 shown]
	v_add_f64 v[229:230], v[235:236], -v[229:230]
	v_mul_f64 v[235:236], v[147:148], s[24:25]
	v_mul_f64 v[147:148], v[147:148], s[16:17]
	v_add_f64 v[94:95], v[219:220], v[94:95]
	v_add_f64 v[92:93], v[177:178], v[92:93]
	;; [unrolled: 1-line block ×4, first 2 shown]
	v_mul_f64 v[235:236], v[137:138], s[24:25]
	v_add_f64 v[147:148], v[193:194], v[147:148]
	v_fma_f64 v[193:194], v[137:138], s[0:1], v[139:140]
	v_fma_f64 v[139:140], v[137:138], s[0:1], -v[139:140]
	v_mul_f64 v[137:138], v[137:138], s[16:17]
	v_add_f64 v[167:168], v[215:216], v[245:246]
	v_add_f64 v[211:212], v[235:236], -v[211:212]
	v_add_f64 v[147:148], v[147:148], v[241:242]
	v_add_f64 v[84:85], v[139:140], v[84:85]
	v_add_f64 v[137:138], v[137:138], -v[187:188]
	v_mul_f64 v[187:188], v[145:146], s[0:1]
	v_mul_f64 v[145:146], v[149:150], s[6:7]
	;; [unrolled: 1-line block ×3, first 2 shown]
	v_add_f64 v[115:116], v[115:116], v[167:168]
	v_add_f64 v[108:109], v[108:109], v[147:148]
	;; [unrolled: 1-line block ×5, first 2 shown]
	v_mul_f64 v[227:228], v[135:136], s[0:1]
	v_add_f64 v[145:146], v[175:176], v[145:146]
	v_add_f64 v[175:176], v[211:212], v[233:234]
	v_mul_f64 v[135:136], v[149:150], s[24:25]
	v_add_f64 v[149:150], v[193:194], v[221:222]
	v_add_f64 v[110:111], v[155:156], v[104:105]
	v_mul_f64 v[104:105], v[131:132], s[14:15]
	v_add_f64 v[139:140], v[139:140], -v[195:196]
	v_add_f64 v[115:116], v[123:124], v[115:116]
	v_add_f64 v[119:120], v[119:120], v[84:85]
	;; [unrolled: 1-line block ×4, first 2 shown]
	v_add_f64 v[225:226], v[227:228], -v[225:226]
	v_add_f64 v[123:124], v[145:146], v[108:109]
	v_add_f64 v[106:107], v[106:107], v[175:176]
	;; [unrolled: 1-line block ×5, first 2 shown]
	v_fma_f64 v[131:132], v[127:128], s[6:7], v[104:105]
	v_fma_f64 v[143:144], v[127:128], s[6:7], -v[104:105]
	v_mul_f64 v[104:105], v[127:128], s[0:1]
	v_add_f64 v[108:109], v[165:166], v[115:116]
	v_add_f64 v[117:118], v[129:130], v[117:118]
	;; [unrolled: 1-line block ×7, first 2 shown]
	v_lshl_add_u32 v110, v251, 4, v253
	v_add_f64 v[98:99], v[143:144], v[119:120]
	v_add_f64 v[127:128], v[104:105], -v[153:154]
	v_add_f64 v[104:105], v[121:122], v[113:114]
	v_add_f64 v[113:114], v[189:190], v[86:87]
	;; [unrolled: 1-line block ×7, first 2 shown]
	s_clause 0x1
	buffer_load_dword v92, off, s[40:43], 0
	buffer_load_dword v93, off, s[40:43], 0 offset:4
	v_add_f64 v[106:107], v[102:103], v[106:107]
	v_add_f64 v[84:85], v[131:132], v[104:105]
	;; [unrolled: 1-line block ×7, first 2 shown]
	s_waitcnt vmcnt(0)
	v_add_f64 v[94:95], v[129:130], v[92:93]
	s_clause 0x1
	buffer_load_dword v92, off, s[40:43], 0 offset:8
	buffer_load_dword v93, off, s[40:43], 0 offset:12
	s_waitcnt vmcnt(0)
	v_add_f64 v[92:93], v[137:138], v[92:93]
	ds_write_b128 v110, v[76:79] offset:784
	ds_write_b128 v110, v[68:71] offset:896
	;; [unrolled: 1-line block ×9, first 2 shown]
	ds_write_b128 v252, v[92:95]
	ds_write_b128 v110, v[72:75] offset:1120
.LBB0_5:
	s_or_b32 exec_lo, exec_lo, s33
	s_add_u32 s0, s12, 0x4d0
	s_addc_u32 s1, s13, 0
	s_waitcnt lgkmcnt(0)
	s_waitcnt_vscnt null, 0x0
	s_barrier
	buffer_gl0_inv
	s_clause 0x6
	global_load_dwordx4 v[84:87], v[96:97], off offset:1232
	global_load_dwordx4 v[88:91], v254, s[0:1] offset:176
	global_load_dwordx4 v[92:95], v254, s[0:1] offset:352
	;; [unrolled: 1-line block ×6, first 2 shown]
	ds_read_b128 v[113:116], v252
	ds_read_b128 v[117:120], v252 offset:176
	ds_read_b128 v[121:124], v252 offset:352
	ds_read_b128 v[125:128], v252 offset:528
	ds_read_b128 v[129:132], v252 offset:704
	ds_read_b128 v[133:136], v252 offset:880
	ds_read_b128 v[137:140], v252 offset:1056
	s_mov_b32 s0, 0x37e14327
	s_mov_b32 s1, 0x3fe948f6
	;; [unrolled: 1-line block ×10, first 2 shown]
	s_waitcnt vmcnt(6) lgkmcnt(6)
	v_mul_f64 v[141:142], v[115:116], v[86:87]
	v_mul_f64 v[86:87], v[113:114], v[86:87]
	s_waitcnt vmcnt(5) lgkmcnt(5)
	v_mul_f64 v[143:144], v[119:120], v[90:91]
	v_mul_f64 v[90:91], v[117:118], v[90:91]
	;; [unrolled: 3-line block ×7, first 2 shown]
	v_fma_f64 v[113:114], v[113:114], v[84:85], -v[141:142]
	v_fma_f64 v[115:116], v[115:116], v[84:85], v[86:87]
	v_fma_f64 v[84:85], v[117:118], v[88:89], -v[143:144]
	v_fma_f64 v[86:87], v[119:120], v[88:89], v[90:91]
	;; [unrolled: 2-line block ×7, first 2 shown]
	ds_write_b128 v252, v[113:116]
	ds_write_b128 v252, v[84:87] offset:176
	ds_write_b128 v252, v[88:91] offset:352
	;; [unrolled: 1-line block ×6, first 2 shown]
	s_waitcnt lgkmcnt(0)
	s_barrier
	buffer_gl0_inv
	ds_read_b128 v[84:87], v252 offset:176
	ds_read_b128 v[88:91], v252 offset:1056
	;; [unrolled: 1-line block ×6, first 2 shown]
	s_waitcnt lgkmcnt(4)
	v_add_f64 v[108:109], v[84:85], v[88:89]
	v_add_f64 v[110:111], v[86:87], v[90:91]
	s_waitcnt lgkmcnt(2)
	v_add_f64 v[113:114], v[96:97], v[92:93]
	v_add_f64 v[115:116], v[98:99], v[94:95]
	;; [unrolled: 3-line block ×3, first 2 shown]
	v_add_f64 v[92:93], v[96:97], -v[92:93]
	v_add_f64 v[94:95], v[98:99], -v[94:95]
	;; [unrolled: 1-line block ×6, first 2 shown]
	ds_read_b128 v[84:87], v252
	s_waitcnt lgkmcnt(0)
	s_barrier
	buffer_gl0_inv
	v_add_f64 v[100:101], v[113:114], v[108:109]
	v_add_f64 v[102:103], v[115:116], v[110:111]
	v_add_f64 v[104:105], v[108:109], -v[117:118]
	v_add_f64 v[106:107], v[110:111], -v[119:120]
	;; [unrolled: 1-line block ×10, first 2 shown]
	v_add_f64 v[92:93], v[96:97], v[92:93]
	v_add_f64 v[94:95], v[98:99], v[94:95]
	v_add_f64 v[96:97], v[88:89], -v[96:97]
	v_add_f64 v[98:99], v[90:91], -v[98:99]
	v_add_f64 v[100:101], v[117:118], v[100:101]
	v_add_f64 v[102:103], v[119:120], v[102:103]
	v_mul_f64 v[104:105], v[104:105], s[0:1]
	v_mul_f64 v[106:107], v[106:107], s[0:1]
	s_mov_b32 s0, 0x429ad128
	v_mul_f64 v[113:114], v[121:122], s[4:5]
	v_mul_f64 v[115:116], v[123:124], s[4:5]
	;; [unrolled: 1-line block ×4, first 2 shown]
	s_mov_b32 s1, 0xbfebfeb5
	s_mov_b32 s6, 0xaaaaaaaa
	v_mul_f64 v[125:126], v[129:130], s[0:1]
	v_mul_f64 v[127:128], v[131:132], s[0:1]
	s_mov_b32 s7, 0xbff2aaaa
	v_add_f64 v[88:89], v[92:93], v[88:89]
	v_add_f64 v[90:91], v[94:95], v[90:91]
	;; [unrolled: 1-line block ×4, first 2 shown]
	v_fma_f64 v[92:93], v[121:122], s[4:5], v[104:105]
	v_fma_f64 v[94:95], v[123:124], s[4:5], v[106:107]
	v_fma_f64 v[113:114], v[108:109], s[12:13], -v[113:114]
	v_fma_f64 v[115:116], v[110:111], s[12:13], -v[115:116]
	s_mov_b32 s13, 0xbfe77f67
	v_fma_f64 v[121:122], v[96:97], s[14:15], v[117:118]
	v_fma_f64 v[123:124], v[98:99], s[14:15], v[119:120]
	s_mov_b32 s15, 0x3fd5d0dc
	v_fma_f64 v[117:118], v[129:130], s[0:1], -v[117:118]
	v_fma_f64 v[119:120], v[131:132], s[0:1], -v[119:120]
	;; [unrolled: 1-line block ×6, first 2 shown]
	s_mov_b32 s0, 0x37c3f68c
	s_mov_b32 s1, 0xbfdc38aa
	v_fma_f64 v[100:101], v[100:101], s[6:7], v[84:85]
	v_fma_f64 v[102:103], v[102:103], s[6:7], v[86:87]
	;; [unrolled: 1-line block ×8, first 2 shown]
	v_add_f64 v[125:126], v[92:93], v[100:101]
	v_add_f64 v[127:128], v[94:95], v[102:103]
	;; [unrolled: 1-line block ×7, first 2 shown]
	v_add_f64 v[98:99], v[127:128], -v[110:111]
	v_add_f64 v[100:101], v[104:105], v[123:124]
	v_add_f64 v[102:103], v[106:107], -v[121:122]
	v_add_f64 v[88:89], v[92:93], -v[119:120]
	v_add_f64 v[90:91], v[117:118], v[94:95]
	v_add_f64 v[92:93], v[92:93], v[119:120]
	v_add_f64 v[94:95], v[94:95], -v[117:118]
	v_add_f64 v[104:105], v[104:105], -v[123:124]
	v_add_f64 v[106:107], v[121:122], v[106:107]
	v_add_f64 v[108:109], v[125:126], -v[108:109]
	v_add_f64 v[110:111], v[110:111], v[127:128]
	ds_write_b128 v255, v[84:87]
	ds_write_b128 v255, v[96:99] offset:16
	ds_write_b128 v255, v[100:103] offset:32
	;; [unrolled: 1-line block ×6, first 2 shown]
	s_waitcnt lgkmcnt(0)
	s_barrier
	buffer_gl0_inv
	s_and_saveexec_b32 s0, vcc_lo
	s_cbranch_execz .LBB0_7
; %bb.6:
	ds_read_b128 v[84:87], v252
	ds_read_b128 v[96:99], v252 offset:112
	ds_read_b128 v[100:103], v252 offset:224
	;; [unrolled: 1-line block ×10, first 2 shown]
.LBB0_7:
	s_or_b32 exec_lo, exec_lo, s0
	s_and_saveexec_b32 s33, vcc_lo
	s_cbranch_execz .LBB0_9
; %bb.8:
	s_waitcnt lgkmcnt(9)
	v_mul_f64 v[113:114], v[30:31], v[98:99]
	s_waitcnt lgkmcnt(0)
	v_mul_f64 v[115:116], v[46:47], v[74:75]
	v_mul_f64 v[117:118], v[30:31], v[96:97]
	;; [unrolled: 1-line block ×13, first 2 shown]
	s_mov_b32 s22, 0xfd768dbf
	s_mov_b32 s23, 0xbfd207e7
	;; [unrolled: 1-line block ×8, first 2 shown]
	v_fma_f64 v[96:97], v[28:29], v[96:97], v[113:114]
	v_fma_f64 v[30:31], v[44:45], v[72:73], v[115:116]
	v_fma_f64 v[72:73], v[28:29], v[98:99], -v[117:118]
	v_fma_f64 v[28:29], v[44:45], v[74:75], -v[46:47]
	v_mul_f64 v[44:45], v[50:51], v[92:93]
	v_mul_f64 v[46:47], v[66:67], v[76:77]
	;; [unrolled: 1-line block ×6, first 2 shown]
	v_fma_f64 v[98:99], v[36:37], v[100:101], v[127:128]
	v_fma_f64 v[34:35], v[40:41], v[80:81], v[129:130]
	v_fma_f64 v[80:81], v[36:37], v[102:103], -v[38:39]
	v_fma_f64 v[36:37], v[40:41], v[82:83], -v[42:43]
	v_fma_f64 v[82:83], v[52:53], v[104:105], v[119:120]
	v_fma_f64 v[100:101], v[60:61], v[108:109], v[121:122]
	v_fma_f64 v[52:53], v[52:53], v[106:107], -v[54:55]
	v_fma_f64 v[54:55], v[60:61], v[110:111], -v[62:63]
	v_fma_f64 v[60:61], v[48:49], v[92:93], v[123:124]
	v_fma_f64 v[62:63], v[64:65], v[76:77], v[125:126]
	s_mov_b32 s16, 0x43842ef
	s_mov_b32 s4, 0x7f775887
	;; [unrolled: 1-line block ×3, first 2 shown]
	v_add_f64 v[40:41], v[96:97], -v[30:31]
	s_mov_b32 s17, 0xbfefac9e
	v_add_f64 v[42:43], v[72:73], -v[28:29]
	v_fma_f64 v[44:45], v[48:49], v[94:95], -v[44:45]
	v_fma_f64 v[46:47], v[64:65], v[78:79], -v[46:47]
	v_fma_f64 v[48:49], v[32:33], v[88:89], v[50:51]
	v_fma_f64 v[38:39], v[56:57], v[68:69], v[66:67]
	v_fma_f64 v[50:51], v[32:33], v[90:91], -v[74:75]
	v_fma_f64 v[32:33], v[56:57], v[70:71], -v[58:59]
	v_add_f64 v[64:65], v[72:73], v[28:29]
	v_add_f64 v[56:57], v[98:99], -v[34:35]
	v_add_f64 v[66:67], v[96:97], v[30:31]
	v_add_f64 v[58:59], v[80:81], -v[36:37]
	v_add_f64 v[88:89], v[80:81], v[36:37]
	v_add_f64 v[102:103], v[98:99], v[34:35]
	s_mov_b32 s5, 0xbfe4f49e
	s_mov_b32 s7, 0x3feaeb8c
	;; [unrolled: 1-line block ×4, first 2 shown]
	v_add_f64 v[76:77], v[60:61], -v[62:63]
	s_mov_b32 s0, 0x640f44db
	s_mov_b32 s1, 0xbfc2375f
	v_mul_f64 v[68:69], v[40:41], s[22:23]
	v_mul_f64 v[125:126], v[40:41], s[14:15]
	;; [unrolled: 1-line block ×4, first 2 shown]
	v_add_f64 v[92:93], v[44:45], -v[46:47]
	v_mul_f64 v[151:152], v[40:41], s[16:17]
	v_add_f64 v[78:79], v[48:49], -v[38:39]
	v_add_f64 v[123:124], v[48:49], v[38:39]
	v_add_f64 v[94:95], v[50:51], -v[32:33]
	v_add_f64 v[117:118], v[50:51], v[32:33]
	v_mul_f64 v[104:105], v[56:57], s[12:13]
	v_mul_f64 v[153:154], v[56:57], s[26:27]
	;; [unrolled: 1-line block ×4, first 2 shown]
	s_mov_b32 s25, 0x3fed1bb4
	s_mov_b32 s24, 0x8eee2c13
	;; [unrolled: 1-line block ×6, first 2 shown]
	v_add_f64 v[110:111], v[44:45], v[46:47]
	v_add_f64 v[121:122], v[60:61], v[62:63]
	v_fma_f64 v[113:114], v[64:65], s[18:19], v[68:69]
	v_fma_f64 v[68:69], v[64:65], s[18:19], -v[68:69]
	v_fma_f64 v[115:116], v[66:67], s[18:19], -v[70:71]
	v_fma_f64 v[70:71], v[66:67], s[18:19], v[70:71]
	v_fma_f64 v[155:156], v[64:65], s[4:5], v[125:126]
	v_add_f64 v[72:73], v[86:87], v[72:73]
	v_mul_f64 v[131:132], v[78:79], s[14:15]
	v_add_f64 v[96:97], v[84:85], v[96:97]
	v_mul_f64 v[139:140], v[94:95], s[14:15]
	v_mul_f64 v[129:130], v[76:77], s[24:25]
	v_fma_f64 v[141:142], v[88:89], s[6:7], v[104:105]
	v_fma_f64 v[104:105], v[88:89], s[6:7], -v[104:105]
	v_fma_f64 v[143:144], v[102:103], s[6:7], -v[106:107]
	v_fma_f64 v[106:107], v[102:103], s[6:7], v[106:107]
	v_mul_f64 v[135:136], v[92:93], s[24:25]
	v_mul_f64 v[149:150], v[78:79], s[28:29]
	;; [unrolled: 1-line block ×3, first 2 shown]
	v_fma_f64 v[169:170], v[66:67], s[4:5], -v[137:138]
	v_fma_f64 v[125:126], v[64:65], s[4:5], -v[125:126]
	v_fma_f64 v[137:138], v[66:67], s[4:5], v[137:138]
	v_fma_f64 v[173:174], v[88:89], s[0:1], v[153:154]
	v_fma_f64 v[177:178], v[66:67], s[0:1], -v[163:164]
	v_add_f64 v[113:114], v[86:87], v[113:114]
	v_add_f64 v[68:69], v[86:87], v[68:69]
	;; [unrolled: 1-line block ×5, first 2 shown]
	s_mov_b32 s20, 0xd9c712b6
	v_fma_f64 v[167:168], v[117:118], s[4:5], v[131:132]
	v_fma_f64 v[131:132], v[117:118], s[4:5], -v[131:132]
	v_fma_f64 v[171:172], v[123:124], s[4:5], -v[139:140]
	v_fma_f64 v[139:140], v[123:124], s[4:5], v[139:140]
	s_mov_b32 s21, 0x3fda9628
	v_mul_f64 v[147:148], v[76:77], s[22:23]
	v_mul_f64 v[159:160], v[94:95], s[28:29]
	;; [unrolled: 1-line block ×3, first 2 shown]
	v_add_f64 v[72:73], v[72:73], v[80:81]
	v_fma_f64 v[80:81], v[110:111], s[20:21], v[129:130]
	v_fma_f64 v[175:176], v[121:122], s[20:21], -v[135:136]
	v_fma_f64 v[129:130], v[110:111], s[20:21], -v[129:130]
	;; [unrolled: 1-line block ×3, first 2 shown]
	v_fma_f64 v[135:136], v[121:122], s[20:21], v[135:136]
	v_fma_f64 v[153:154], v[88:89], s[0:1], -v[153:154]
	v_fma_f64 v[161:162], v[102:103], s[0:1], v[161:162]
	v_add_f64 v[113:114], v[141:142], v[113:114]
	v_add_f64 v[68:69], v[104:105], v[68:69]
	;; [unrolled: 1-line block ×4, first 2 shown]
	v_mul_f64 v[104:105], v[56:57], s[30:31]
	v_mul_f64 v[141:142], v[58:59], s[30:31]
	v_fma_f64 v[143:144], v[64:65], s[0:1], v[151:152]
	v_mul_f64 v[106:107], v[94:95], s[24:25]
	v_add_f64 v[125:126], v[86:87], v[125:126]
	v_add_f64 v[137:138], v[84:85], v[137:138]
	;; [unrolled: 1-line block ×5, first 2 shown]
	v_add_f64 v[74:75], v[82:83], -v[100:101]
	v_add_f64 v[90:91], v[52:53], -v[54:55]
	v_mul_f64 v[157:158], v[92:93], s[22:23]
	v_add_f64 v[169:170], v[84:85], v[169:170]
	v_fma_f64 v[177:178], v[123:124], s[6:7], -v[159:160]
	v_fma_f64 v[159:160], v[123:124], s[6:7], v[159:160]
	v_fma_f64 v[151:152], v[64:65], s[0:1], -v[151:152]
	v_add_f64 v[50:51], v[72:73], v[50:51]
	v_fma_f64 v[72:73], v[110:111], s[18:19], -v[147:148]
	v_add_f64 v[113:114], v[167:168], v[113:114]
	v_add_f64 v[68:69], v[131:132], v[68:69]
	v_add_f64 v[115:116], v[171:172], v[115:116]
	v_add_f64 v[70:71], v[139:140], v[70:71]
	v_fma_f64 v[131:132], v[88:89], s[18:19], v[104:105]
	v_fma_f64 v[171:172], v[102:103], s[18:19], -v[141:142]
	v_add_f64 v[139:140], v[86:87], v[143:144]
	v_fma_f64 v[143:144], v[117:118], s[6:7], v[149:150]
	v_fma_f64 v[149:150], v[117:118], s[6:7], -v[149:150]
	v_add_f64 v[125:126], v[153:154], v[125:126]
	v_add_f64 v[137:138], v[161:162], v[137:138]
	v_fma_f64 v[161:162], v[123:124], s[20:21], -v[106:107]
	v_add_f64 v[48:49], v[96:97], v[48:49]
	v_mul_f64 v[145:146], v[74:75], s[24:25]
	v_fma_f64 v[104:105], v[88:89], s[18:19], -v[104:105]
	v_fma_f64 v[141:142], v[102:103], s[18:19], v[141:142]
	v_add_f64 v[169:170], v[179:180], v[169:170]
	v_add_f64 v[108:109], v[52:53], v[54:55]
	v_fma_f64 v[106:107], v[123:124], s[20:21], v[106:107]
	v_add_f64 v[119:120], v[82:83], v[100:101]
	v_add_f64 v[44:45], v[50:51], v[44:45]
	v_mul_f64 v[50:51], v[42:43], s[28:29]
	v_add_f64 v[80:81], v[80:81], v[113:114]
	v_add_f64 v[68:69], v[129:130], v[68:69]
	v_fma_f64 v[129:130], v[66:67], s[0:1], v[163:164]
	v_add_f64 v[70:71], v[135:136], v[70:71]
	v_fma_f64 v[135:136], v[117:118], s[20:21], v[165:166]
	v_add_f64 v[163:164], v[171:172], v[173:174]
	v_add_f64 v[131:132], v[131:132], v[139:140]
	v_fma_f64 v[139:140], v[110:111], s[18:19], v[147:148]
	v_add_f64 v[143:144], v[143:144], v[155:156]
	v_mul_f64 v[155:156], v[92:93], s[28:29]
	v_add_f64 v[113:114], v[175:176], v[115:116]
	v_mul_f64 v[115:116], v[76:77], s[28:29]
	v_mul_f64 v[171:172], v[90:91], s[24:25]
	s_mov_b32 s25, 0xbfed1bb4
	v_fma_f64 v[173:174], v[121:122], s[18:19], -v[157:158]
	v_add_f64 v[96:97], v[149:150], v[125:126]
	v_fma_f64 v[125:126], v[121:122], s[18:19], v[157:158]
	v_add_f64 v[147:148], v[86:87], v[151:152]
	v_add_f64 v[137:138], v[159:160], v[137:138]
	;; [unrolled: 1-line block ×3, first 2 shown]
	v_mul_f64 v[42:43], v[42:43], s[24:25]
	v_add_f64 v[169:170], v[177:178], v[169:170]
	v_add_f64 v[44:45], v[44:45], v[52:53]
	v_fma_f64 v[52:53], v[66:67], s[6:7], v[50:51]
	v_add_f64 v[129:130], v[84:85], v[129:130]
	v_fma_f64 v[153:154], v[108:109], s[20:21], v[145:146]
	v_fma_f64 v[60:61], v[108:109], s[20:21], -v[145:146]
	v_add_f64 v[159:160], v[161:162], v[163:164]
	v_add_f64 v[131:132], v[135:136], v[131:132]
	v_fma_f64 v[145:146], v[117:118], s[20:21], -v[165:166]
	v_add_f64 v[135:136], v[139:140], v[143:144]
	v_mul_f64 v[139:140], v[40:41], s[24:25]
	v_fma_f64 v[157:158], v[121:122], s[6:7], -v[155:156]
	v_mul_f64 v[40:41], v[40:41], s[28:29]
	v_fma_f64 v[151:152], v[110:111], s[6:7], v[115:116]
	v_fma_f64 v[50:51], v[66:67], s[6:7], -v[50:51]
	v_fma_f64 v[161:162], v[119:120], s[20:21], -v[171:172]
	v_add_f64 v[72:73], v[72:73], v[96:97]
	v_fma_f64 v[96:97], v[119:120], s[20:21], v[171:172]
	v_add_f64 v[104:105], v[104:105], v[147:148]
	v_fma_f64 v[115:116], v[110:111], s[6:7], -v[115:116]
	v_add_f64 v[48:49], v[48:49], v[82:83]
	v_fma_f64 v[82:83], v[66:67], s[20:21], v[42:43]
	v_fma_f64 v[42:43], v[66:67], s[20:21], -v[42:43]
	v_add_f64 v[163:164], v[173:174], v[169:170]
	v_mul_f64 v[66:67], v[78:79], s[30:31]
	v_add_f64 v[129:130], v[141:142], v[129:130]
	v_mul_f64 v[141:142], v[56:57], s[14:15]
	v_mul_f64 v[56:57], v[56:57], s[24:25]
	;; [unrolled: 1-line block ×3, first 2 shown]
	v_add_f64 v[44:45], v[44:45], v[54:55]
	v_add_f64 v[52:53], v[84:85], v[52:53]
	v_mul_f64 v[127:128], v[74:75], s[16:17]
	v_fma_f64 v[147:148], v[64:65], s[20:21], -v[139:140]
	v_add_f64 v[157:158], v[157:158], v[159:160]
	v_fma_f64 v[159:160], v[64:65], s[6:7], -v[40:41]
	v_add_f64 v[131:132], v[151:152], v[131:132]
	v_mul_f64 v[151:152], v[58:59], s[14:15]
	v_mul_f64 v[58:59], v[58:59], s[24:25]
	v_fma_f64 v[139:140], v[64:65], s[20:21], v[139:140]
	v_fma_f64 v[40:41], v[64:65], s[6:7], v[40:41]
	v_add_f64 v[104:105], v[145:146], v[104:105]
	v_fma_f64 v[145:146], v[121:122], s[6:7], v[155:156]
	v_add_f64 v[48:49], v[48:49], v[100:101]
	v_add_f64 v[54:55], v[84:85], v[82:83]
	;; [unrolled: 1-line block ×4, first 2 shown]
	v_mul_f64 v[84:85], v[76:77], s[26:27]
	v_add_f64 v[64:65], v[106:107], v[129:130]
	v_fma_f64 v[129:130], v[88:89], s[4:5], -v[141:142]
	v_fma_f64 v[169:170], v[88:89], s[20:21], -v[56:57]
	v_mul_f64 v[106:107], v[94:95], s[30:31]
	v_mul_f64 v[94:95], v[94:95], s[16:17]
	v_fma_f64 v[82:83], v[88:89], s[4:5], v[141:142]
	v_fma_f64 v[56:57], v[88:89], s[20:21], v[56:57]
	v_add_f64 v[147:148], v[86:87], v[147:148]
	v_fma_f64 v[88:89], v[117:118], s[18:19], -v[66:67]
	v_add_f64 v[159:160], v[86:87], v[159:160]
	v_mul_f64 v[76:77], v[76:77], s[14:15]
	v_fma_f64 v[155:156], v[102:103], s[4:5], v[151:152]
	v_fma_f64 v[171:172], v[102:103], s[20:21], v[58:59]
	v_add_f64 v[100:101], v[86:87], v[139:140]
	v_fma_f64 v[139:140], v[102:103], s[4:5], -v[151:152]
	v_add_f64 v[40:41], v[86:87], v[40:41]
	v_fma_f64 v[58:59], v[102:103], s[20:21], -v[58:59]
	v_fma_f64 v[141:142], v[117:118], s[0:1], -v[78:79]
	v_add_f64 v[44:45], v[44:45], v[46:47]
	v_add_f64 v[46:47], v[48:49], v[62:63]
	v_mul_f64 v[86:87], v[92:93], s[26:27]
	v_mul_f64 v[92:93], v[92:93], s[14:15]
	v_fma_f64 v[78:79], v[117:118], s[0:1], v[78:79]
	v_mul_f64 v[133:134], v[90:91], s[16:17]
	v_mul_f64 v[149:150], v[74:75], s[14:15]
	;; [unrolled: 1-line block ×3, first 2 shown]
	v_fma_f64 v[151:152], v[123:124], s[0:1], v[94:95]
	v_add_f64 v[64:65], v[145:146], v[64:65]
	v_add_f64 v[125:126], v[125:126], v[137:138]
	;; [unrolled: 1-line block ×3, first 2 shown]
	v_fma_f64 v[129:130], v[123:124], s[18:19], v[106:107]
	v_add_f64 v[147:148], v[169:170], v[159:160]
	v_fma_f64 v[98:99], v[108:109], s[0:1], v[127:128]
	v_fma_f64 v[127:128], v[108:109], s[0:1], -v[127:128]
	v_add_f64 v[48:49], v[171:172], v[52:53]
	v_add_f64 v[52:53], v[155:156], v[54:55]
	v_fma_f64 v[54:55], v[117:118], s[18:19], v[66:67]
	v_add_f64 v[62:63], v[82:83], v[100:101]
	v_fma_f64 v[66:67], v[123:124], s[18:19], -v[106:107]
	v_add_f64 v[42:43], v[139:140], v[42:43]
	v_add_f64 v[40:41], v[56:57], v[40:41]
	v_fma_f64 v[56:57], v[123:124], s[0:1], -v[94:95]
	v_add_f64 v[50:51], v[58:59], v[50:51]
	v_fma_f64 v[94:95], v[110:111], s[0:1], -v[84:85]
	v_add_f64 v[32:33], v[44:45], v[32:33]
	v_add_f64 v[38:39], v[46:47], v[38:39]
	v_mul_f64 v[58:59], v[74:75], s[12:13]
	v_mul_f64 v[82:83], v[90:91], s[12:13]
	;; [unrolled: 1-line block ×4, first 2 shown]
	v_fma_f64 v[117:118], v[121:122], s[4:5], v[92:93]
	v_add_f64 v[88:89], v[88:89], v[102:103]
	v_fma_f64 v[102:103], v[110:111], s[4:5], -v[76:77]
	v_add_f64 v[106:107], v[141:142], v[147:148]
	v_fma_f64 v[100:101], v[121:122], s[0:1], v[86:87]
	v_fma_f64 v[167:168], v[119:120], s[0:1], -v[133:134]
	v_add_f64 v[44:45], v[151:152], v[48:49]
	v_add_f64 v[46:47], v[129:130], v[52:53]
	v_fma_f64 v[48:49], v[110:111], s[0:1], v[84:85]
	v_add_f64 v[52:53], v[54:55], v[62:63]
	v_fma_f64 v[54:55], v[121:122], s[0:1], -v[86:87]
	v_add_f64 v[42:43], v[66:67], v[42:43]
	v_fma_f64 v[62:63], v[110:111], s[4:5], v[76:77]
	v_add_f64 v[40:41], v[78:79], v[40:41]
	v_fma_f64 v[66:67], v[121:122], s[4:5], -v[92:93]
	v_add_f64 v[50:51], v[56:57], v[50:51]
	v_add_f64 v[76:77], v[115:116], v[104:105]
	;; [unrolled: 1-line block ×3, first 2 shown]
	v_fma_f64 v[56:57], v[108:109], s[4:5], -v[149:150]
	v_fma_f64 v[84:85], v[108:109], s[6:7], -v[58:59]
	;; [unrolled: 1-line block ×3, first 2 shown]
	v_fma_f64 v[78:79], v[119:120], s[4:5], v[143:144]
	v_fma_f64 v[133:134], v[119:120], s[0:1], v[133:134]
	v_add_f64 v[86:87], v[94:95], v[88:89]
	v_fma_f64 v[88:89], v[119:120], s[6:7], v[82:83]
	v_add_f64 v[94:95], v[102:103], v[106:107]
	v_add_f64 v[106:107], v[38:39], v[34:35]
	v_fma_f64 v[102:103], v[119:120], s[18:19], v[90:91]
	v_add_f64 v[44:45], v[117:118], v[44:45]
	v_add_f64 v[100:101], v[100:101], v[46:47]
	v_fma_f64 v[137:138], v[108:109], s[4:5], v[149:150]
	v_fma_f64 v[165:166], v[119:120], s[4:5], -v[143:144]
	v_fma_f64 v[110:111], v[108:109], s[6:7], v[58:59]
	v_add_f64 v[115:116], v[48:49], v[52:53]
	v_fma_f64 v[82:83], v[119:120], s[6:7], -v[82:83]
	v_add_f64 v[117:118], v[54:55], v[42:43]
	v_fma_f64 v[74:75], v[108:109], s[18:19], v[74:75]
	v_add_f64 v[108:109], v[62:63], v[40:41]
	v_fma_f64 v[90:91], v[119:120], s[18:19], -v[90:91]
	v_add_f64 v[119:120], v[66:67], v[50:51]
	v_add_f64 v[46:47], v[60:61], v[72:73]
	;; [unrolled: 1-line block ×23, first 2 shown]
	v_lshl_add_u32 v72, v251, 4, v253
	ds_write_b128 v252, v[60:63]
	ds_write_b128 v72, v[56:59] offset:112
	ds_write_b128 v72, v[52:55] offset:224
	;; [unrolled: 1-line block ×10, first 2 shown]
.LBB0_9:
	s_or_b32 exec_lo, exec_lo, s33
	s_waitcnt lgkmcnt(0)
	s_barrier
	buffer_gl0_inv
	ds_read_b128 v[28:31], v252
	ds_read_b128 v[32:35], v252 offset:176
	ds_read_b128 v[36:39], v252 offset:352
	;; [unrolled: 1-line block ×6, first 2 shown]
	v_mad_u64_u32 v[56:57], null, s10, v112, 0
	v_mad_u64_u32 v[58:59], null, s8, v251, 0
	s_mov_b32 s0, 0x606a63be
	s_mov_b32 s1, 0x3f8a98ef
	s_mul_i32 s4, s9, 0xb0
	v_mad_u64_u32 v[64:65], null, s11, v112, v[57:58]
	s_waitcnt lgkmcnt(6)
	v_mul_f64 v[60:61], v[2:3], v[30:31]
	v_mul_f64 v[2:3], v[2:3], v[28:29]
	s_waitcnt lgkmcnt(5)
	v_mul_f64 v[62:63], v[6:7], v[34:35]
	v_mul_f64 v[6:7], v[6:7], v[32:33]
	;; [unrolled: 3-line block ×6, first 2 shown]
	v_mov_b32_e32 v57, v64
	v_lshlrev_b64 v[56:57], 4, v[56:57]
	v_mad_u64_u32 v[65:66], null, s9, v251, v[59:60]
	v_mul_f64 v[66:67], v[10:11], v[38:39]
	v_mul_f64 v[10:11], v[10:11], v[36:37]
	v_fma_f64 v[28:29], v[0:1], v[28:29], v[60:61]
	v_fma_f64 v[2:3], v[0:1], v[30:31], -v[2:3]
	v_fma_f64 v[30:31], v[4:5], v[32:33], v[62:63]
	v_fma_f64 v[6:7], v[4:5], v[34:35], -v[6:7]
	v_mov_b32_e32 v59, v65
	v_add_co_u32 v4, vcc_lo, s2, v56
	v_add_co_ci_u32_e32 v5, vcc_lo, s3, v57, vcc_lo
	v_lshlrev_b64 v[0:1], 4, v[58:59]
	v_fma_f64 v[14:15], v[12:13], v[42:43], -v[14:15]
	v_fma_f64 v[42:43], v[20:21], v[52:53], v[74:75]
	s_mul_hi_u32 s2, s8, 0xb0
	s_mul_i32 s3, s8, 0xb0
	s_add_i32 s2, s2, s4
	v_add_co_u32 v34, vcc_lo, v4, v0
	v_add_co_ci_u32_e32 v35, vcc_lo, v5, v1, vcc_lo
	v_fma_f64 v[32:33], v[8:9], v[36:37], v[66:67]
	v_fma_f64 v[10:11], v[8:9], v[38:39], -v[10:11]
	v_fma_f64 v[36:37], v[12:13], v[40:41], v[68:69]
	v_fma_f64 v[38:39], v[24:25], v[44:45], v[70:71]
	v_fma_f64 v[24:25], v[24:25], v[46:47], -v[26:27]
	v_fma_f64 v[26:27], v[16:17], v[48:49], v[72:73]
	v_fma_f64 v[40:41], v[16:17], v[50:51], -v[18:19]
	v_mul_f64 v[0:1], v[28:29], s[0:1]
	v_fma_f64 v[28:29], v[20:21], v[54:55], -v[22:23]
	v_mul_f64 v[2:3], v[2:3], s[0:1]
	v_mul_f64 v[4:5], v[30:31], s[0:1]
	v_add_co_u32 v30, vcc_lo, v34, s3
	v_add_co_ci_u32_e32 v31, vcc_lo, s2, v35, vcc_lo
	v_mul_f64 v[6:7], v[6:7], s[0:1]
	v_mul_f64 v[14:15], v[14:15], s[0:1]
	;; [unrolled: 1-line block ×3, first 2 shown]
	v_add_co_u32 v32, vcc_lo, v30, s3
	v_mul_f64 v[10:11], v[10:11], s[0:1]
	v_add_co_ci_u32_e32 v33, vcc_lo, s2, v31, vcc_lo
	v_mul_f64 v[12:13], v[36:37], s[0:1]
	v_mul_f64 v[16:17], v[38:39], s[0:1]
	;; [unrolled: 1-line block ×7, first 2 shown]
	v_add_co_u32 v28, vcc_lo, v32, s3
	v_add_co_ci_u32_e32 v29, vcc_lo, s2, v33, vcc_lo
	global_store_dwordx4 v[34:35], v[0:3], off
	v_add_co_u32 v36, vcc_lo, v28, s3
	v_add_co_ci_u32_e32 v37, vcc_lo, s2, v29, vcc_lo
	global_store_dwordx4 v[30:31], v[4:7], off
	v_add_co_u32 v0, vcc_lo, v36, s3
	v_add_co_ci_u32_e32 v1, vcc_lo, s2, v37, vcc_lo
	v_add_co_u32 v2, vcc_lo, v0, s3
	v_add_co_ci_u32_e32 v3, vcc_lo, s2, v1, vcc_lo
	global_store_dwordx4 v[32:33], v[8:11], off
	global_store_dwordx4 v[28:29], v[12:15], off
	;; [unrolled: 1-line block ×5, first 2 shown]
.LBB0_10:
	s_endpgm
	.section	.rodata,"a",@progbits
	.p2align	6, 0x0
	.amdhsa_kernel bluestein_single_back_len77_dim1_dp_op_CI_CI
		.amdhsa_group_segment_fixed_size 28336
		.amdhsa_private_segment_fixed_size 20
		.amdhsa_kernarg_size 104
		.amdhsa_user_sgpr_count 6
		.amdhsa_user_sgpr_private_segment_buffer 1
		.amdhsa_user_sgpr_dispatch_ptr 0
		.amdhsa_user_sgpr_queue_ptr 0
		.amdhsa_user_sgpr_kernarg_segment_ptr 1
		.amdhsa_user_sgpr_dispatch_id 0
		.amdhsa_user_sgpr_flat_scratch_init 0
		.amdhsa_user_sgpr_private_segment_size 0
		.amdhsa_wavefront_size32 1
		.amdhsa_uses_dynamic_stack 0
		.amdhsa_system_sgpr_private_segment_wavefront_offset 1
		.amdhsa_system_sgpr_workgroup_id_x 1
		.amdhsa_system_sgpr_workgroup_id_y 0
		.amdhsa_system_sgpr_workgroup_id_z 0
		.amdhsa_system_sgpr_workgroup_info 0
		.amdhsa_system_vgpr_workitem_id 0
		.amdhsa_next_free_vgpr 256
		.amdhsa_next_free_sgpr 44
		.amdhsa_reserve_vcc 1
		.amdhsa_reserve_flat_scratch 0
		.amdhsa_float_round_mode_32 0
		.amdhsa_float_round_mode_16_64 0
		.amdhsa_float_denorm_mode_32 3
		.amdhsa_float_denorm_mode_16_64 3
		.amdhsa_dx10_clamp 1
		.amdhsa_ieee_mode 1
		.amdhsa_fp16_overflow 0
		.amdhsa_workgroup_processor_mode 1
		.amdhsa_memory_ordered 1
		.amdhsa_forward_progress 0
		.amdhsa_shared_vgpr_count 0
		.amdhsa_exception_fp_ieee_invalid_op 0
		.amdhsa_exception_fp_denorm_src 0
		.amdhsa_exception_fp_ieee_div_zero 0
		.amdhsa_exception_fp_ieee_overflow 0
		.amdhsa_exception_fp_ieee_underflow 0
		.amdhsa_exception_fp_ieee_inexact 0
		.amdhsa_exception_int_div_zero 0
	.end_amdhsa_kernel
	.text
.Lfunc_end0:
	.size	bluestein_single_back_len77_dim1_dp_op_CI_CI, .Lfunc_end0-bluestein_single_back_len77_dim1_dp_op_CI_CI
                                        ; -- End function
	.section	.AMDGPU.csdata,"",@progbits
; Kernel info:
; codeLenInByte = 10608
; NumSgprs: 46
; NumVgprs: 256
; ScratchSize: 20
; MemoryBound: 0
; FloatMode: 240
; IeeeMode: 1
; LDSByteSize: 28336 bytes/workgroup (compile time only)
; SGPRBlocks: 5
; VGPRBlocks: 31
; NumSGPRsForWavesPerEU: 46
; NumVGPRsForWavesPerEU: 256
; Occupancy: 4
; WaveLimiterHint : 1
; COMPUTE_PGM_RSRC2:SCRATCH_EN: 1
; COMPUTE_PGM_RSRC2:USER_SGPR: 6
; COMPUTE_PGM_RSRC2:TRAP_HANDLER: 0
; COMPUTE_PGM_RSRC2:TGID_X_EN: 1
; COMPUTE_PGM_RSRC2:TGID_Y_EN: 0
; COMPUTE_PGM_RSRC2:TGID_Z_EN: 0
; COMPUTE_PGM_RSRC2:TIDIG_COMP_CNT: 0
	.text
	.p2alignl 6, 3214868480
	.fill 48, 4, 3214868480
	.type	__hip_cuid_de7f0419d242e0f4,@object ; @__hip_cuid_de7f0419d242e0f4
	.section	.bss,"aw",@nobits
	.globl	__hip_cuid_de7f0419d242e0f4
__hip_cuid_de7f0419d242e0f4:
	.byte	0                               ; 0x0
	.size	__hip_cuid_de7f0419d242e0f4, 1

	.ident	"AMD clang version 19.0.0git (https://github.com/RadeonOpenCompute/llvm-project roc-6.4.0 25133 c7fe45cf4b819c5991fe208aaa96edf142730f1d)"
	.section	".note.GNU-stack","",@progbits
	.addrsig
	.addrsig_sym __hip_cuid_de7f0419d242e0f4
	.amdgpu_metadata
---
amdhsa.kernels:
  - .args:
      - .actual_access:  read_only
        .address_space:  global
        .offset:         0
        .size:           8
        .value_kind:     global_buffer
      - .actual_access:  read_only
        .address_space:  global
        .offset:         8
        .size:           8
        .value_kind:     global_buffer
      - .actual_access:  read_only
        .address_space:  global
        .offset:         16
        .size:           8
        .value_kind:     global_buffer
      - .actual_access:  read_only
        .address_space:  global
        .offset:         24
        .size:           8
        .value_kind:     global_buffer
      - .actual_access:  read_only
        .address_space:  global
        .offset:         32
        .size:           8
        .value_kind:     global_buffer
      - .offset:         40
        .size:           8
        .value_kind:     by_value
      - .address_space:  global
        .offset:         48
        .size:           8
        .value_kind:     global_buffer
      - .address_space:  global
        .offset:         56
        .size:           8
        .value_kind:     global_buffer
      - .address_space:  global
        .offset:         64
        .size:           8
        .value_kind:     global_buffer
      - .address_space:  global
        .offset:         72
        .size:           8
        .value_kind:     global_buffer
      - .offset:         80
        .size:           4
        .value_kind:     by_value
      - .address_space:  global
        .offset:         88
        .size:           8
        .value_kind:     global_buffer
      - .address_space:  global
        .offset:         96
        .size:           8
        .value_kind:     global_buffer
    .group_segment_fixed_size: 28336
    .kernarg_segment_align: 8
    .kernarg_segment_size: 104
    .language:       OpenCL C
    .language_version:
      - 2
      - 0
    .max_flat_workgroup_size: 253
    .name:           bluestein_single_back_len77_dim1_dp_op_CI_CI
    .private_segment_fixed_size: 20
    .sgpr_count:     46
    .sgpr_spill_count: 0
    .symbol:         bluestein_single_back_len77_dim1_dp_op_CI_CI.kd
    .uniform_work_group_size: 1
    .uses_dynamic_stack: false
    .vgpr_count:     256
    .vgpr_spill_count: 4
    .wavefront_size: 32
    .workgroup_processor_mode: 1
amdhsa.target:   amdgcn-amd-amdhsa--gfx1030
amdhsa.version:
  - 1
  - 2
...

	.end_amdgpu_metadata
